;; amdgpu-corpus repo=ROCm/rocFFT kind=compiled arch=gfx906 opt=O3
	.text
	.amdgcn_target "amdgcn-amd-amdhsa--gfx906"
	.amdhsa_code_object_version 6
	.protected	fft_rtc_back_len768_factors_16_3_16_wgs_48_tpt_48_halfLds_sp_op_CI_CI_unitstride_sbrr_dirReg ; -- Begin function fft_rtc_back_len768_factors_16_3_16_wgs_48_tpt_48_halfLds_sp_op_CI_CI_unitstride_sbrr_dirReg
	.globl	fft_rtc_back_len768_factors_16_3_16_wgs_48_tpt_48_halfLds_sp_op_CI_CI_unitstride_sbrr_dirReg
	.p2align	8
	.type	fft_rtc_back_len768_factors_16_3_16_wgs_48_tpt_48_halfLds_sp_op_CI_CI_unitstride_sbrr_dirReg,@function
fft_rtc_back_len768_factors_16_3_16_wgs_48_tpt_48_halfLds_sp_op_CI_CI_unitstride_sbrr_dirReg: ; @fft_rtc_back_len768_factors_16_3_16_wgs_48_tpt_48_halfLds_sp_op_CI_CI_unitstride_sbrr_dirReg
; %bb.0:
	s_load_dwordx4 s[8:11], s[4:5], 0x58
	s_load_dwordx4 s[12:15], s[4:5], 0x0
	;; [unrolled: 1-line block ×3, first 2 shown]
	v_mul_u32_u24_e32 v1, 0x556, v0
	v_mov_b32_e32 v3, 0
	v_mov_b32_e32 v11, 0
	s_waitcnt lgkmcnt(0)
	v_cmp_lt_u64_e64 s[0:1], s[14:15], 2
	v_add_u32_sdwa v6, s6, v1 dst_sel:DWORD dst_unused:UNUSED_PAD src0_sel:DWORD src1_sel:WORD_1
	v_mov_b32_e32 v7, v3
	s_and_b64 vcc, exec, s[0:1]
	v_mov_b32_e32 v12, 0
	s_cbranch_vccnz .LBB0_8
; %bb.1:
	s_load_dwordx2 s[0:1], s[4:5], 0x10
	s_add_u32 s2, s18, 8
	s_addc_u32 s3, s19, 0
	s_add_u32 s6, s16, 8
	s_addc_u32 s7, s17, 0
	v_mov_b32_e32 v11, 0
	s_waitcnt lgkmcnt(0)
	s_add_u32 s20, s0, 8
	v_mov_b32_e32 v12, 0
	v_mov_b32_e32 v1, v11
	s_addc_u32 s21, s1, 0
	s_mov_b64 s[22:23], 1
	v_mov_b32_e32 v2, v12
.LBB0_2:                                ; =>This Inner Loop Header: Depth=1
	s_load_dwordx2 s[24:25], s[20:21], 0x0
	s_waitcnt lgkmcnt(0)
	v_or_b32_e32 v4, s25, v7
	v_cmp_ne_u64_e32 vcc, 0, v[3:4]
                                        ; implicit-def: $vgpr4_vgpr5
	s_and_saveexec_b64 s[0:1], vcc
	s_xor_b64 s[26:27], exec, s[0:1]
	s_cbranch_execz .LBB0_4
; %bb.3:                                ;   in Loop: Header=BB0_2 Depth=1
	v_cvt_f32_u32_e32 v4, s24
	v_cvt_f32_u32_e32 v5, s25
	s_sub_u32 s0, 0, s24
	s_subb_u32 s1, 0, s25
	v_mac_f32_e32 v4, 0x4f800000, v5
	v_rcp_f32_e32 v4, v4
	v_mul_f32_e32 v4, 0x5f7ffffc, v4
	v_mul_f32_e32 v5, 0x2f800000, v4
	v_trunc_f32_e32 v5, v5
	v_mac_f32_e32 v4, 0xcf800000, v5
	v_cvt_u32_f32_e32 v5, v5
	v_cvt_u32_f32_e32 v4, v4
	v_mul_lo_u32 v8, s0, v5
	v_mul_hi_u32 v9, s0, v4
	v_mul_lo_u32 v13, s1, v4
	v_mul_lo_u32 v10, s0, v4
	v_add_u32_e32 v8, v9, v8
	v_add_u32_e32 v8, v8, v13
	v_mul_hi_u32 v9, v4, v10
	v_mul_lo_u32 v13, v4, v8
	v_mul_hi_u32 v15, v4, v8
	v_mul_hi_u32 v14, v5, v10
	v_mul_lo_u32 v10, v5, v10
	v_mul_hi_u32 v16, v5, v8
	v_add_co_u32_e32 v9, vcc, v9, v13
	v_addc_co_u32_e32 v13, vcc, 0, v15, vcc
	v_mul_lo_u32 v8, v5, v8
	v_add_co_u32_e32 v9, vcc, v9, v10
	v_addc_co_u32_e32 v9, vcc, v13, v14, vcc
	v_addc_co_u32_e32 v10, vcc, 0, v16, vcc
	v_add_co_u32_e32 v8, vcc, v9, v8
	v_addc_co_u32_e32 v9, vcc, 0, v10, vcc
	v_add_co_u32_e32 v4, vcc, v4, v8
	v_addc_co_u32_e32 v5, vcc, v5, v9, vcc
	v_mul_lo_u32 v8, s0, v5
	v_mul_hi_u32 v9, s0, v4
	v_mul_lo_u32 v10, s1, v4
	v_mul_lo_u32 v13, s0, v4
	v_add_u32_e32 v8, v9, v8
	v_add_u32_e32 v8, v8, v10
	v_mul_lo_u32 v14, v4, v8
	v_mul_hi_u32 v15, v4, v13
	v_mul_hi_u32 v16, v4, v8
	v_mul_hi_u32 v10, v5, v13
	v_mul_lo_u32 v13, v5, v13
	v_mul_hi_u32 v9, v5, v8
	v_add_co_u32_e32 v14, vcc, v15, v14
	v_addc_co_u32_e32 v15, vcc, 0, v16, vcc
	v_mul_lo_u32 v8, v5, v8
	v_add_co_u32_e32 v13, vcc, v14, v13
	v_addc_co_u32_e32 v10, vcc, v15, v10, vcc
	v_addc_co_u32_e32 v9, vcc, 0, v9, vcc
	v_add_co_u32_e32 v8, vcc, v10, v8
	v_addc_co_u32_e32 v9, vcc, 0, v9, vcc
	v_add_co_u32_e32 v8, vcc, v4, v8
	v_addc_co_u32_e32 v9, vcc, v5, v9, vcc
	v_mad_u64_u32 v[4:5], s[0:1], v6, v9, 0
	v_mul_hi_u32 v10, v6, v8
	v_add_co_u32_e32 v10, vcc, v10, v4
	v_addc_co_u32_e32 v13, vcc, 0, v5, vcc
	v_mad_u64_u32 v[4:5], s[0:1], v7, v8, 0
	v_mad_u64_u32 v[8:9], s[0:1], v7, v9, 0
	v_add_co_u32_e32 v4, vcc, v10, v4
	v_addc_co_u32_e32 v4, vcc, v13, v5, vcc
	v_addc_co_u32_e32 v5, vcc, 0, v9, vcc
	v_add_co_u32_e32 v8, vcc, v4, v8
	v_addc_co_u32_e32 v9, vcc, 0, v5, vcc
	v_mul_lo_u32 v10, s25, v8
	v_mul_lo_u32 v13, s24, v9
	v_mad_u64_u32 v[4:5], s[0:1], s24, v8, 0
	v_add3_u32 v5, v5, v13, v10
	v_sub_u32_e32 v10, v7, v5
	v_mov_b32_e32 v13, s25
	v_sub_co_u32_e32 v4, vcc, v6, v4
	v_subb_co_u32_e64 v10, s[0:1], v10, v13, vcc
	v_subrev_co_u32_e64 v13, s[0:1], s24, v4
	v_subbrev_co_u32_e64 v10, s[0:1], 0, v10, s[0:1]
	v_cmp_le_u32_e64 s[0:1], s25, v10
	v_cndmask_b32_e64 v14, 0, -1, s[0:1]
	v_cmp_le_u32_e64 s[0:1], s24, v13
	v_cndmask_b32_e64 v13, 0, -1, s[0:1]
	v_cmp_eq_u32_e64 s[0:1], s25, v10
	v_cndmask_b32_e64 v10, v14, v13, s[0:1]
	v_add_co_u32_e64 v13, s[0:1], 2, v8
	v_addc_co_u32_e64 v14, s[0:1], 0, v9, s[0:1]
	v_add_co_u32_e64 v15, s[0:1], 1, v8
	v_addc_co_u32_e64 v16, s[0:1], 0, v9, s[0:1]
	v_subb_co_u32_e32 v5, vcc, v7, v5, vcc
	v_cmp_ne_u32_e64 s[0:1], 0, v10
	v_cmp_le_u32_e32 vcc, s25, v5
	v_cndmask_b32_e64 v10, v16, v14, s[0:1]
	v_cndmask_b32_e64 v14, 0, -1, vcc
	v_cmp_le_u32_e32 vcc, s24, v4
	v_cndmask_b32_e64 v4, 0, -1, vcc
	v_cmp_eq_u32_e32 vcc, s25, v5
	v_cndmask_b32_e32 v4, v14, v4, vcc
	v_cmp_ne_u32_e32 vcc, 0, v4
	v_cndmask_b32_e64 v4, v15, v13, s[0:1]
	v_cndmask_b32_e32 v5, v9, v10, vcc
	v_cndmask_b32_e32 v4, v8, v4, vcc
.LBB0_4:                                ;   in Loop: Header=BB0_2 Depth=1
	s_andn2_saveexec_b64 s[0:1], s[26:27]
	s_cbranch_execz .LBB0_6
; %bb.5:                                ;   in Loop: Header=BB0_2 Depth=1
	v_cvt_f32_u32_e32 v4, s24
	s_sub_i32 s26, 0, s24
	v_rcp_iflag_f32_e32 v4, v4
	v_mul_f32_e32 v4, 0x4f7ffffe, v4
	v_cvt_u32_f32_e32 v4, v4
	v_mul_lo_u32 v5, s26, v4
	v_mul_hi_u32 v5, v4, v5
	v_add_u32_e32 v4, v4, v5
	v_mul_hi_u32 v4, v6, v4
	v_mul_lo_u32 v5, v4, s24
	v_add_u32_e32 v8, 1, v4
	v_sub_u32_e32 v5, v6, v5
	v_subrev_u32_e32 v9, s24, v5
	v_cmp_le_u32_e32 vcc, s24, v5
	v_cndmask_b32_e32 v5, v5, v9, vcc
	v_cndmask_b32_e32 v4, v4, v8, vcc
	v_add_u32_e32 v8, 1, v4
	v_cmp_le_u32_e32 vcc, s24, v5
	v_cndmask_b32_e32 v4, v4, v8, vcc
	v_mov_b32_e32 v5, v3
.LBB0_6:                                ;   in Loop: Header=BB0_2 Depth=1
	s_or_b64 exec, exec, s[0:1]
	v_mul_lo_u32 v10, v5, s24
	v_mul_lo_u32 v13, v4, s25
	v_mad_u64_u32 v[8:9], s[0:1], v4, s24, 0
	s_load_dwordx2 s[0:1], s[6:7], 0x0
	s_load_dwordx2 s[24:25], s[2:3], 0x0
	v_add3_u32 v9, v9, v13, v10
	v_sub_co_u32_e32 v6, vcc, v6, v8
	v_subb_co_u32_e32 v7, vcc, v7, v9, vcc
	s_waitcnt lgkmcnt(0)
	v_mul_lo_u32 v8, s0, v7
	v_mul_lo_u32 v9, s1, v6
	v_mad_u64_u32 v[11:12], s[0:1], s0, v6, v[11:12]
	v_mul_lo_u32 v7, s24, v7
	v_mul_lo_u32 v10, s25, v6
	v_mad_u64_u32 v[1:2], s[0:1], s24, v6, v[1:2]
	s_add_u32 s22, s22, 1
	s_addc_u32 s23, s23, 0
	s_add_u32 s2, s2, 8
	v_add3_u32 v2, v10, v2, v7
	s_addc_u32 s3, s3, 0
	v_mov_b32_e32 v6, s14
	s_add_u32 s6, s6, 8
	v_mov_b32_e32 v7, s15
	s_addc_u32 s7, s7, 0
	v_cmp_ge_u64_e32 vcc, s[22:23], v[6:7]
	s_add_u32 s20, s20, 8
	v_add3_u32 v12, v9, v12, v8
	s_addc_u32 s21, s21, 0
	s_cbranch_vccnz .LBB0_9
; %bb.7:                                ;   in Loop: Header=BB0_2 Depth=1
	v_mov_b32_e32 v7, v5
	v_mov_b32_e32 v6, v4
	s_branch .LBB0_2
.LBB0_8:
	v_mov_b32_e32 v1, v11
	v_mov_b32_e32 v4, v6
	;; [unrolled: 1-line block ×4, first 2 shown]
.LBB0_9:
	s_load_dwordx2 s[0:1], s[4:5], 0x28
	s_lshl_b64 s[6:7], s[14:15], 3
	s_add_u32 s2, s18, s6
	s_addc_u32 s3, s19, s7
                                        ; implicit-def: $sgpr14_sgpr15
                                        ; implicit-def: $sgpr18
                                        ; implicit-def: $vgpr42
                                        ; implicit-def: $vgpr43
	s_waitcnt lgkmcnt(0)
	v_cmp_gt_u64_e32 vcc, s[0:1], v[4:5]
	v_cmp_le_u64_e64 s[0:1], s[0:1], v[4:5]
	s_and_saveexec_b64 s[4:5], s[0:1]
	s_xor_b64 s[0:1], exec, s[4:5]
; %bb.10:
	s_mov_b32 s4, 0x5555556
	v_mul_hi_u32 v3, v0, s4
	s_mov_b32 s18, 0
	s_mov_b64 s[14:15], 0
                                        ; implicit-def: $vgpr11_vgpr12
	v_mul_u32_u24_e32 v3, 48, v3
	v_sub_u32_e32 v42, v0, v3
	v_or_b32_e32 v43, 0xc0, v42
                                        ; implicit-def: $vgpr0
; %bb.11:
	s_or_saveexec_b64 s[4:5], s[0:1]
	v_mov_b32_e32 v7, s14
	v_mov_b32_e32 v13, s14
	;; [unrolled: 1-line block ×17, first 2 shown]
                                        ; implicit-def: $vgpr10
                                        ; implicit-def: $vgpr16
                                        ; implicit-def: $vgpr28
                                        ; implicit-def: $vgpr18
                                        ; implicit-def: $vgpr40
                                        ; implicit-def: $vgpr34
                                        ; implicit-def: $vgpr38
                                        ; implicit-def: $vgpr36
	s_xor_b64 exec, exec, s[4:5]
	s_cbranch_execz .LBB0_13
; %bb.12:
	s_add_u32 s0, s16, s6
	s_addc_u32 s1, s17, s7
	s_load_dwordx2 s[0:1], s[0:1], 0x0
	s_mov_b32 s6, 0x5555556
	v_mul_hi_u32 v3, v0, s6
	s_waitcnt lgkmcnt(0)
	v_mul_lo_u32 v8, s1, v4
	v_mul_lo_u32 v9, s0, v5
	v_mad_u64_u32 v[6:7], s[0:1], s0, v4, 0
	v_mul_u32_u24_e32 v3, 48, v3
	v_sub_u32_e32 v42, v0, v3
	v_add3_u32 v7, v7, v9, v8
	v_lshlrev_b64 v[6:7], 3, v[6:7]
	v_mov_b32_e32 v0, s9
	v_add_co_u32_e64 v3, s[0:1], s8, v6
	v_addc_co_u32_e64 v0, s[0:1], v0, v7, s[0:1]
	v_lshlrev_b64 v[6:7], 3, v[11:12]
	v_add_co_u32_e64 v3, s[0:1], v3, v6
	v_addc_co_u32_e64 v0, s[0:1], v0, v7, s[0:1]
	v_lshlrev_b32_e32 v6, 3, v42
	v_add_co_u32_e64 v11, s[0:1], v3, v6
	v_addc_co_u32_e64 v12, s[0:1], 0, v0, s[0:1]
	global_load_dwordx2 v[7:8], v[11:12], off
	global_load_dwordx2 v[23:24], v[11:12], off offset:384
	global_load_dwordx2 v[29:30], v[11:12], off offset:768
	;; [unrolled: 1-line block ×7, first 2 shown]
	s_movk_i32 s0, 0x1000
	v_add_co_u32_e64 v43, s[0:1], s0, v11
	v_addc_co_u32_e64 v44, s[0:1], 0, v12, s[0:1]
	v_or_b32_e32 v6, 0x1200, v6
	global_load_dwordx2 v[9:10], v[11:12], off offset:3072
	global_load_dwordx2 v[15:16], v[11:12], off offset:3456
	;; [unrolled: 1-line block ×4, first 2 shown]
	v_add_co_u32_e64 v11, s[0:1], v3, v6
	v_addc_co_u32_e64 v12, s[0:1], 0, v0, s[0:1]
	global_load_dwordx2 v[33:34], v[43:44], off offset:896
	global_load_dwordx2 v[37:38], v[43:44], off offset:1280
	global_load_dwordx2 v[39:40], v[11:12], off
	global_load_dwordx2 v[35:36], v[43:44], off offset:1664
	v_or_b32_e32 v43, 0xc0, v42
	v_mov_b32_e32 v3, v42
.LBB0_13:
	s_or_b64 exec, exec, s[4:5]
	s_waitcnt vmcnt(5)
	v_sub_f32_e32 v6, v30, v28
	s_waitcnt vmcnt(2)
	v_sub_f32_e32 v28, v32, v38
	v_sub_f32_e32 v0, v29, v27
	;; [unrolled: 1-line block ×3, first 2 shown]
	v_fma_f32 v37, v32, 2.0, -v28
	v_sub_f32_e32 v15, v23, v15
	v_sub_f32_e32 v32, v26, v34
	v_fma_f32 v12, v29, 2.0, -v0
	v_fma_f32 v29, v31, 2.0, -v27
	v_sub_f32_e32 v16, v24, v16
	v_sub_f32_e32 v31, v25, v33
	;; [unrolled: 1-line block ×3, first 2 shown]
	s_waitcnt vmcnt(0)
	v_sub_f32_e32 v34, v22, v36
	v_add_f32_e32 v38, v15, v32
	v_sub_f32_e32 v11, v13, v39
	v_sub_f32_e32 v39, v14, v40
	;; [unrolled: 1-line block ×4, first 2 shown]
	v_fma_f32 v22, v22, 2.0, -v34
	v_sub_f32_e32 v40, v16, v31
	v_fma_f32 v35, v15, 2.0, -v38
	v_add_f32_e32 v34, v17, v34
	v_fma_f32 v23, v23, 2.0, -v15
	v_fma_f32 v24, v24, 2.0, -v16
	;; [unrolled: 1-line block ×4, first 2 shown]
	v_sub_f32_e32 v36, v18, v33
	v_fma_f32 v17, v17, 2.0, -v34
	v_mov_b32_e32 v15, v35
	v_fma_f32 v25, v25, 2.0, -v31
	v_fma_f32 v20, v20, 2.0, -v18
	;; [unrolled: 1-line block ×3, first 2 shown]
	v_fmac_f32_e32 v15, 0xbf3504f3, v17
	v_mov_b32_e32 v31, v16
	v_sub_f32_e32 v9, v7, v9
	v_fmac_f32_e32 v31, 0xbf3504f3, v18
	v_fmac_f32_e32 v15, 0x3f3504f3, v18
	v_add_f32_e32 v18, v9, v39
	v_fma_f32 v21, v21, 2.0, -v33
	v_mov_b32_e32 v33, v40
	v_fma_f32 v7, v7, 2.0, -v9
	v_fma_f32 v9, v9, 2.0, -v18
	v_add_f32_e32 v28, v0, v28
	v_fma_f32 v26, v26, 2.0, -v32
	v_mov_b32_e32 v32, v38
	v_fmac_f32_e32 v33, 0x3f3504f3, v36
	v_sub_f32_e32 v27, v6, v27
	v_fma_f32 v0, v0, 2.0, -v28
	v_mov_b32_e32 v44, v9
	v_fmac_f32_e32 v32, 0x3f3504f3, v34
	v_fmac_f32_e32 v33, 0xbf3504f3, v34
	v_fma_f32 v13, v13, 2.0, -v11
	v_sub_f32_e32 v34, v12, v29
	v_fma_f32 v29, v6, 2.0, -v27
	v_fmac_f32_e32 v44, 0xbf3504f3, v0
	v_fmac_f32_e32 v31, 0xbf3504f3, v17
	v_sub_f32_e32 v17, v7, v13
	v_sub_f32_e32 v25, v23, v25
	;; [unrolled: 1-line block ×3, first 2 shown]
	v_fmac_f32_e32 v44, 0x3f3504f3, v29
	v_fma_f32 v30, v30, 2.0, -v6
	v_fma_f32 v7, v7, 2.0, -v17
	v_fma_f32 v12, v12, 2.0, -v34
	v_fma_f32 v6, v23, 2.0, -v25
	v_fma_f32 v13, v19, 2.0, -v21
	v_fma_f32 v19, v9, 2.0, -v44
	v_sub_f32_e32 v23, v7, v12
	v_sub_f32_e32 v9, v6, v13
	v_fma_f32 v35, v35, 2.0, -v15
	v_mov_b32_e32 v13, v19
	v_mov_b32_e32 v48, v18
	v_fmac_f32_e32 v32, 0x3f3504f3, v36
	v_fma_f32 v7, v7, 2.0, -v23
	v_fma_f32 v6, v6, 2.0, -v9
	;; [unrolled: 1-line block ×3, first 2 shown]
	v_fmac_f32_e32 v13, 0xbf6c835e, v35
	v_sub_f32_e32 v41, v30, v37
	v_fmac_f32_e32 v48, 0x3f3504f3, v28
	v_sub_f32_e32 v12, v7, v6
	;; [unrolled: 2-line block ×3, first 2 shown]
	v_add_f32_e32 v47, v17, v41
	v_fmac_f32_e32 v48, 0x3f3504f3, v27
	v_fma_f32 v6, v7, 2.0, -v12
	v_fma_f32 v7, v19, 2.0, -v13
	v_sub_f32_e32 v26, v24, v26
	v_fma_f32 v19, v17, 2.0, -v47
	v_fma_f32 v37, v18, 2.0, -v48
	v_add_f32_e32 v56, v25, v22
	v_sub_f32_e32 v55, v26, v21
	v_fma_f32 v25, v25, 2.0, -v56
	v_fma_f32 v38, v38, 2.0, -v32
	v_mov_b32_e32 v16, v19
	v_mov_b32_e32 v17, v37
	v_fma_f32 v40, v40, 2.0, -v33
	v_fmac_f32_e32 v16, 0xbf3504f3, v25
	v_fma_f32 v50, v26, 2.0, -v55
	v_fmac_f32_e32 v17, 0xbec3ef15, v38
	v_fmac_f32_e32 v16, 0x3f3504f3, v50
	;; [unrolled: 1-line block ×3, first 2 shown]
	v_fma_f32 v18, v19, 2.0, -v16
	v_fma_f32 v19, v37, 2.0, -v17
	v_lshl_add_u32 v37, v42, 6, 0
	ds_write2_b64 v37, v[6:7], v[18:19] offset1:1
	v_fma_f32 v45, v24, 2.0, -v26
	v_fma_f32 v6, v20, 2.0, -v22
	v_sub_f32_e32 v46, v45, v6
	v_mov_b32_e32 v19, v44
	v_mov_b32_e32 v6, v47
	;; [unrolled: 1-line block ×3, first 2 shown]
	v_fmac_f32_e32 v19, 0x3ec3ef15, v15
	v_fmac_f32_e32 v6, 0x3f3504f3, v56
	;; [unrolled: 1-line block ×3, first 2 shown]
	v_add_f32_e32 v18, v23, v46
	v_fmac_f32_e32 v19, 0x3f6c835e, v31
	v_fmac_f32_e32 v6, 0x3f3504f3, v55
	v_fmac_f32_e32 v7, 0x3ec3ef15, v33
	s_movk_i32 s0, 0xffc4
	v_fma_f32 v20, v23, 2.0, -v18
	v_fma_f32 v21, v44, 2.0, -v19
	;; [unrolled: 1-line block ×4, first 2 shown]
	v_mul_f32_e32 v53, 0x3f3504f3, v0
	v_mad_i32_i24 v0, v42, s0, v37
	ds_write2_b64 v37, v[20:21], v[22:23] offset0:2 offset1:3
	ds_write2_b64 v37, v[12:13], v[16:17] offset0:4 offset1:5
	;; [unrolled: 1-line block ×3, first 2 shown]
	v_add_u32_e32 v20, 0x800, v0
	s_load_dwordx2 s[2:3], s[2:3], 0x0
	v_mul_f32_e32 v54, 0x3f3504f3, v29
	v_mul_f32_e32 v51, 0x3f3504f3, v28
	;; [unrolled: 1-line block ×4, first 2 shown]
	s_waitcnt lgkmcnt(0)
	; wave barrier
	s_waitcnt lgkmcnt(0)
	v_add_u32_e32 v6, 0x400, v0
	ds_read2_b32 v[16:17], v0 offset1:48
	ds_read2st64_b32 v[18:19], v0 offset0:7 offset1:8
	ds_read2_b32 v[12:13], v0 offset0:96 offset1:144
	ds_read2_b32 v[28:29], v6 offset1:48
	ds_read2_b32 v[24:25], v6 offset0:96 offset1:144
	ds_read2_b32 v[26:27], v20 offset0:48 offset1:96
	ds_read2_b32 v[20:21], v20 offset0:144 offset1:192
	v_lshl_add_u32 v0, v43, 2, 0
	ds_read_b32 v6, v0
	v_mul_i32_i24_e32 v22, 0xffffffc4, v42
	v_mul_f32_e32 v50, 0x3f3504f3, v50
	v_mul_f32_e32 v47, 0x3f3504f3, v56
	;; [unrolled: 1-line block ×3, first 2 shown]
	v_cmp_gt_u32_e64 s[0:1], 16, v42
	v_add_u32_e32 v44, v37, v22
                                        ; implicit-def: $vgpr48
                                        ; implicit-def: $vgpr23
	s_and_saveexec_b64 s[4:5], s[0:1]
	s_cbranch_execz .LBB0_15
; %bb.14:
	v_add_u32_e32 v7, 0xc0, v44
	ds_read2st64_b32 v[22:23], v7 offset0:3 offset1:7
	ds_read_b32 v48, v44 offset:3008
	s_waitcnt lgkmcnt(1)
	v_mov_b32_e32 v7, v22
.LBB0_15:
	s_or_b64 exec, exec, s[4:5]
	v_sub_f32_e32 v10, v8, v10
	v_sub_f32_e32 v11, v10, v11
	v_fma_f32 v8, v8, 2.0, -v10
	v_fma_f32 v14, v14, 2.0, -v39
	;; [unrolled: 1-line block ×3, first 2 shown]
	v_sub_f32_e32 v14, v8, v14
	v_fma_f32 v22, v30, 2.0, -v41
	v_sub_f32_e32 v30, v10, v54
	v_fma_f32 v8, v8, 2.0, -v14
	v_sub_f32_e32 v30, v30, v53
	v_sub_f32_e32 v22, v8, v22
	v_fma_f32 v39, v10, 2.0, -v30
	v_add_f32_e32 v10, v11, v52
	v_fma_f32 v8, v8, 2.0, -v22
	v_sub_f32_e32 v41, v14, v34
	v_sub_f32_e32 v51, v10, v51
	v_fma_f32 v10, v45, 2.0, -v46
	v_fma_f32 v14, v14, 2.0, -v41
	v_fma_f32 v52, v11, 2.0, -v51
	v_sub_f32_e32 v10, v8, v10
	v_fma_f32 v34, v8, 2.0, -v10
	v_mov_b32_e32 v11, v39
	v_sub_f32_e32 v8, v14, v50
	v_mov_b32_e32 v46, v52
	v_fmac_f32_e32 v11, 0xbf6c835e, v36
	v_sub_f32_e32 v45, v8, v49
	v_fmac_f32_e32 v46, 0xbec3ef15, v40
	v_sub_f32_e32 v49, v22, v9
	v_mov_b32_e32 v50, v30
	v_mov_b32_e32 v9, v51
	v_fmac_f32_e32 v11, 0xbec3ef15, v35
	v_fmac_f32_e32 v46, 0xbf6c835e, v38
	;; [unrolled: 1-line block ×3, first 2 shown]
	v_add_f32_e32 v8, v41, v55
	v_fmac_f32_e32 v9, 0x3f6c835e, v33
	v_fma_f32 v35, v39, 2.0, -v11
	v_fma_f32 v39, v14, 2.0, -v45
	;; [unrolled: 1-line block ×3, first 2 shown]
	v_fmac_f32_e32 v50, 0xbf6c835e, v15
	v_sub_f32_e32 v8, v8, v47
	v_fmac_f32_e32 v9, 0xbec3ef15, v32
	v_fma_f32 v14, v22, 2.0, -v49
	v_fma_f32 v15, v30, 2.0, -v50
	;; [unrolled: 1-line block ×4, first 2 shown]
	s_waitcnt lgkmcnt(0)
	; wave barrier
	s_waitcnt lgkmcnt(0)
	ds_write2_b64 v37, v[34:35], v[39:40] offset1:1
	ds_write2_b64 v37, v[14:15], v[30:31] offset0:2 offset1:3
	ds_write2_b64 v37, v[10:11], v[45:46] offset0:4 offset1:5
	ds_write2_b64 v37, v[49:50], v[8:9] offset0:6 offset1:7
	v_add_u32_e32 v8, 0x400, v44
	v_add_u32_e32 v22, 0x800, v44
	s_waitcnt lgkmcnt(0)
	; wave barrier
	s_waitcnt lgkmcnt(0)
	ds_read2_b32 v[10:11], v44 offset1:48
	ds_read2_b32 v[40:41], v8 offset1:48
	ds_read2st64_b32 v[30:31], v44 offset0:7 offset1:8
	ds_read2_b32 v[38:39], v22 offset0:48 offset1:96
	ds_read2_b32 v[14:15], v44 offset0:96 offset1:144
	;; [unrolled: 1-line block ×4, first 2 shown]
	ds_read_b32 v8, v0
                                        ; implicit-def: $vgpr49
                                        ; implicit-def: $vgpr35
	s_and_saveexec_b64 s[4:5], s[0:1]
	s_cbranch_execz .LBB0_17
; %bb.16:
	v_add_u32_e32 v9, 0xc0, v44
	ds_read2st64_b32 v[34:35], v9 offset0:3 offset1:7
	ds_read_b32 v49, v44 offset:3008
	s_waitcnt lgkmcnt(1)
	v_mov_b32_e32 v9, v34
.LBB0_17:
	s_or_b64 exec, exec, s[4:5]
	v_and_b32_e32 v59, 15, v42
	v_lshlrev_b32_e32 v22, 4, v59
	global_load_dword v60, v22, s[12:13]
	v_lshlrev_b32_e32 v22, 4, v42
	v_and_b32_e32 v61, 0xf0, v22
	global_load_dwordx2 v[50:51], v61, s[12:13]
	global_load_dwordx2 v[52:53], v61, s[12:13] offset:4
	global_load_dwordx2 v[54:55], v61, s[12:13] offset:8
	v_add_u32_e32 v56, 48, v42
	v_add_u32_e32 v57, 0x60, v42
	;; [unrolled: 1-line block ×3, first 2 shown]
	s_waitcnt vmcnt(2) lgkmcnt(6)
	v_mul_f32_e32 v22, v40, v51
	s_waitcnt vmcnt(0) lgkmcnt(5)
	v_mul_f32_e32 v45, v31, v55
	v_fmac_f32_e32 v22, v28, v60
	v_mul_f32_e32 v28, v28, v51
	v_fmac_f32_e32 v45, v19, v53
	v_mul_f32_e32 v19, v19, v55
	v_fma_f32 v28, v40, v60, -v28
	v_fma_f32 v47, v31, v53, -v19
	v_mul_f32_e32 v19, v29, v51
	s_waitcnt lgkmcnt(4)
	v_mul_f32_e32 v40, v38, v55
	v_mul_f32_e32 v31, v41, v51
	v_fma_f32 v41, v41, v60, -v19
	v_fmac_f32_e32 v40, v26, v53
	v_mul_f32_e32 v19, v26, v55
	v_mul_f32_e32 v26, v35, v52
	v_fma_f32 v46, v38, v53, -v19
	v_mul_f32_e32 v19, v24, v51
	v_mul_f32_e32 v34, v39, v55
	v_fmac_f32_e32 v26, v23, v50
	v_mul_f32_e32 v23, v23, v52
	s_waitcnt lgkmcnt(2)
	v_fma_f32 v38, v36, v60, -v19
	v_fmac_f32_e32 v34, v27, v53
	v_mul_f32_e32 v19, v27, v55
	v_fma_f32 v27, v35, v50, -v23
	global_load_dword v23, v61, s[12:13] offset:12
	v_fmac_f32_e32 v31, v29, v60
	v_mul_f32_e32 v29, v36, v51
	v_fma_f32 v39, v39, v53, -v19
	v_mul_f32_e32 v19, v25, v51
	v_fmac_f32_e32 v29, v24, v60
	v_mul_f32_e32 v24, v37, v51
	v_fma_f32 v36, v37, v60, -v19
	v_mul_f32_e32 v19, v20, v55
	v_fmac_f32_e32 v24, v25, v60
	s_waitcnt lgkmcnt(1)
	v_mul_f32_e32 v25, v32, v55
	v_fma_f32 v32, v32, v53, -v19
	v_mul_f32_e32 v19, v30, v51
	v_fmac_f32_e32 v19, v18, v60
	v_mul_f32_e32 v18, v18, v51
	v_fmac_f32_e32 v25, v20, v53
	v_fma_f32 v20, v30, v60, -v18
	v_mul_f32_e32 v18, v33, v55
	v_fmac_f32_e32 v18, v21, v53
	v_mul_f32_e32 v21, v21, v55
	v_add_f32_e32 v35, v22, v45
	v_fma_f32 v21, v33, v53, -v21
	v_add_f32_e32 v37, v31, v40
	s_waitcnt lgkmcnt(0)
	; wave barrier
	s_waitcnt vmcnt(0) lgkmcnt(0)
	v_mul_f32_e32 v30, v49, v23
	v_mul_f32_e32 v23, v48, v23
	v_fma_f32 v33, v49, v54, -v23
	v_add_f32_e32 v23, v16, v22
	v_fma_f32 v16, -0.5, v35, v16
	v_fmac_f32_e32 v30, v48, v54
	v_sub_f32_e32 v35, v28, v47
	v_mov_b32_e32 v48, v16
	v_fmac_f32_e32 v48, 0xbf5db3d7, v35
	v_fmac_f32_e32 v16, 0x3f5db3d7, v35
	v_add_f32_e32 v35, v17, v31
	v_fmac_f32_e32 v17, -0.5, v37
	v_sub_f32_e32 v37, v41, v46
	v_mov_b32_e32 v49, v17
	v_fmac_f32_e32 v49, 0xbf5db3d7, v37
	v_fmac_f32_e32 v17, 0x3f5db3d7, v37
	v_add_f32_e32 v37, v12, v29
	v_add_f32_e32 v50, v37, v34
	;; [unrolled: 1-line block ×3, first 2 shown]
	v_fma_f32 v12, -0.5, v37, v12
	v_sub_f32_e32 v37, v38, v39
	v_mov_b32_e32 v51, v12
	v_fmac_f32_e32 v51, 0xbf5db3d7, v37
	v_fmac_f32_e32 v12, 0x3f5db3d7, v37
	v_add_f32_e32 v37, v13, v24
	v_add_f32_e32 v52, v37, v25
	;; [unrolled: 1-line block ×3, first 2 shown]
	v_fmac_f32_e32 v13, -0.5, v37
	v_sub_f32_e32 v37, v36, v32
	v_mov_b32_e32 v53, v13
	v_fmac_f32_e32 v53, 0xbf5db3d7, v37
	v_fmac_f32_e32 v13, 0x3f5db3d7, v37
	v_add_f32_e32 v37, v6, v19
	v_add_f32_e32 v54, v37, v18
	;; [unrolled: 1-line block ×3, first 2 shown]
	v_fmac_f32_e32 v6, -0.5, v37
	v_sub_f32_e32 v37, v20, v21
	v_mov_b32_e32 v55, v6
	v_fmac_f32_e32 v55, 0xbf5db3d7, v37
	v_fmac_f32_e32 v6, 0x3f5db3d7, v37
	v_lshrrev_b32_e32 v37, 4, v42
	v_mul_u32_u24_e32 v37, 48, v37
	v_or_b32_e32 v37, v37, v59
	v_add_f32_e32 v23, v23, v45
	v_lshl_add_u32 v37, v37, 2, 0
	ds_write2_b32 v37, v23, v48 offset1:16
	ds_write_b32 v37, v16 offset:128
	v_lshrrev_b32_e32 v16, 4, v56
	v_mul_u32_u24_e32 v16, 48, v16
	v_or_b32_e32 v16, v16, v59
	v_lshl_add_u32 v48, v16, 2, 0
	v_lshrrev_b32_e32 v16, 4, v57
	v_mul_u32_u24_e32 v16, 48, v16
	v_add_f32_e32 v35, v35, v40
	v_or_b32_e32 v16, v16, v59
	ds_write2_b32 v48, v35, v49 offset1:16
	ds_write_b32 v48, v17 offset:128
	v_lshl_add_u32 v49, v16, 2, 0
	ds_write2_b32 v49, v50, v51 offset1:16
	ds_write_b32 v49, v12 offset:128
	v_lshrrev_b32_e32 v12, 4, v58
	v_mul_u32_u24_e32 v12, 48, v12
	v_or_b32_e32 v12, v12, v59
	v_lshl_add_u32 v50, v12, 2, 0
	v_lshrrev_b32_e32 v12, 4, v43
	v_mul_lo_u32 v12, v12, 48
	v_lshl_add_u32 v35, v42, 2, 0
	ds_write2_b32 v50, v52, v53 offset1:16
	ds_write_b32 v50, v13 offset:128
	v_or_b32_e32 v12, v12, v59
	v_lshl_add_u32 v43, v12, 2, 0
	ds_write2_b32 v43, v54, v55 offset1:16
	ds_write_b32 v43, v6 offset:128
	s_and_saveexec_b64 s[4:5], s[0:1]
	s_cbranch_execz .LBB0_19
; %bb.18:
	v_add_f32_e32 v6, v26, v30
	v_fma_f32 v6, -0.5, v6, v7
	v_sub_f32_e32 v12, v27, v33
	v_mov_b32_e32 v13, v6
	v_add_f32_e32 v7, v7, v26
	v_fmac_f32_e32 v13, 0x3f5db3d7, v12
	v_fmac_f32_e32 v6, 0xbf5db3d7, v12
	v_add_f32_e32 v7, v7, v30
	v_add_u32_e32 v12, 0x800, v35
	ds_write2_b32 v12, v7, v6 offset0:208 offset1:224
	ds_write_b32 v35, v13 offset:3008
.LBB0_19:
	s_or_b64 exec, exec, s[4:5]
	v_add_f32_e32 v6, v10, v28
	v_add_f32_e32 v51, v6, v47
	;; [unrolled: 1-line block ×3, first 2 shown]
	v_fma_f32 v28, -0.5, v6, v10
	v_sub_f32_e32 v6, v22, v45
	v_mov_b32_e32 v45, v28
	v_fmac_f32_e32 v45, 0x3f5db3d7, v6
	v_fmac_f32_e32 v28, 0xbf5db3d7, v6
	v_add_f32_e32 v6, v11, v41
	v_add_f32_e32 v47, v6, v46
	;; [unrolled: 1-line block ×3, first 2 shown]
	v_fmac_f32_e32 v11, -0.5, v6
	v_sub_f32_e32 v6, v31, v40
	v_mov_b32_e32 v31, v11
	v_fmac_f32_e32 v31, 0x3f5db3d7, v6
	v_fmac_f32_e32 v11, 0xbf5db3d7, v6
	v_add_f32_e32 v6, v14, v38
	v_add_f32_e32 v40, v6, v39
	;; [unrolled: 1-line block ×3, first 2 shown]
	v_fma_f32 v38, -0.5, v6, v14
	v_sub_f32_e32 v6, v29, v34
	v_mov_b32_e32 v29, v38
	v_fmac_f32_e32 v29, 0x3f5db3d7, v6
	v_fmac_f32_e32 v38, 0xbf5db3d7, v6
	v_add_f32_e32 v6, v15, v36
	v_add_f32_e32 v34, v6, v32
	;; [unrolled: 1-line block ×3, first 2 shown]
	v_fmac_f32_e32 v15, -0.5, v6
	v_sub_f32_e32 v6, v24, v25
	v_mov_b32_e32 v32, v15
	v_fmac_f32_e32 v32, 0x3f5db3d7, v6
	v_fmac_f32_e32 v15, 0xbf5db3d7, v6
	v_add_f32_e32 v6, v8, v20
	v_add_f32_e32 v36, v6, v21
	;; [unrolled: 1-line block ×3, first 2 shown]
	v_fmac_f32_e32 v8, -0.5, v6
	v_sub_f32_e32 v6, v19, v18
	v_mov_b32_e32 v39, v8
	v_fmac_f32_e32 v39, 0x3f5db3d7, v6
	v_fmac_f32_e32 v8, 0xbf5db3d7, v6
	s_waitcnt lgkmcnt(0)
	; wave barrier
	s_waitcnt lgkmcnt(0)
	ds_read2_b32 v[6:7], v44 offset1:48
	ds_read2_b32 v[16:17], v44 offset0:96 offset1:144
	ds_read_b32 v10, v0
	ds_read_b32 v14, v35 offset:960
	v_add_u32_e32 v12, 0x400, v44
	v_add_u32_e32 v20, 0x600, v44
	;; [unrolled: 1-line block ×3, first 2 shown]
	ds_read2_b32 v[18:19], v12 offset0:32 offset1:80
	ds_read2_b32 v[12:13], v12 offset0:128 offset1:176
	ds_read2_b32 v[20:21], v20 offset0:96 offset1:144
	ds_read2_b32 v[22:23], v24 offset0:64 offset1:112
	ds_read2_b32 v[24:25], v24 offset0:160 offset1:208
	s_waitcnt lgkmcnt(0)
	; wave barrier
	s_waitcnt lgkmcnt(0)
	ds_write2_b32 v37, v51, v45 offset1:16
	ds_write_b32 v37, v28 offset:128
	ds_write2_b32 v48, v47, v31 offset1:16
	ds_write_b32 v48, v11 offset:128
	;; [unrolled: 2-line block ×5, first 2 shown]
	s_and_saveexec_b64 s[4:5], s[0:1]
	s_cbranch_execz .LBB0_21
; %bb.20:
	v_add_f32_e32 v11, v27, v33
	v_add_f32_e32 v8, v9, v27
	v_fmac_f32_e32 v9, -0.5, v11
	v_sub_f32_e32 v11, v26, v30
	v_mov_b32_e32 v15, v9
	v_add_f32_e32 v8, v8, v33
	v_fmac_f32_e32 v15, 0x3f5db3d7, v11
	v_fmac_f32_e32 v9, 0xbf5db3d7, v11
	v_add_u32_e32 v11, 0x800, v35
	ds_write2_b32 v11, v8, v15 offset0:208 offset1:224
	ds_write_b32 v35, v9 offset:3008
.LBB0_21:
	s_or_b64 exec, exec, s[4:5]
	s_waitcnt lgkmcnt(0)
	; wave barrier
	s_waitcnt lgkmcnt(0)
	s_and_saveexec_b64 s[0:1], vcc
	s_cbranch_execz .LBB0_23
; %bb.22:
	v_mul_u32_u24_e32 v8, 15, v42
	v_lshlrev_b32_e32 v11, 3, v8
	global_load_dwordx4 v[26:29], v11, s[12:13] offset:288
	global_load_dwordx4 v[30:33], v11, s[12:13] offset:352
	global_load_dwordx2 v[8:9], v11, s[12:13] offset:368
	global_load_dwordx4 v[36:39], v11, s[12:13] offset:256
	ds_read2_b32 v[45:46], v44 offset0:96 offset1:144
	v_add_u32_e32 v15, 0x400, v44
	v_add_u32_e32 v40, 0x800, v44
	ds_read2_b32 v[47:48], v44 offset1:48
	ds_read_b32 v53, v35 offset:960
	ds_read2_b32 v[49:50], v15 offset0:32 offset1:80
	ds_read2_b32 v[34:35], v40 offset0:160 offset1:208
	;; [unrolled: 1-line block ×3, first 2 shown]
	global_load_dwordx4 v[40:43], v11, s[12:13] offset:304
	s_waitcnt vmcnt(4)
	v_mul_f32_e32 v55, v14, v26
	v_mul_f32_e32 v14, v14, v27
	s_waitcnt lgkmcnt(3)
	v_fmac_f32_e32 v55, v53, v27
	v_fma_f32 v14, v53, v26, -v14
	s_waitcnt vmcnt(2)
	v_mul_f32_e32 v53, v25, v8
	v_mul_f32_e32 v54, v18, v28
	;; [unrolled: 1-line block ×4, first 2 shown]
	s_waitcnt lgkmcnt(1)
	v_fmac_f32_e32 v53, v35, v9
	v_mul_f32_e32 v57, v23, v30
	v_mul_f32_e32 v9, v23, v31
	v_fmac_f32_e32 v54, v49, v29
	v_fma_f32 v18, v49, v28, -v18
	global_load_dwordx4 v[26:29], v11, s[12:13] offset:272
	v_mul_f32_e32 v49, v24, v32
	v_mul_f32_e32 v24, v24, v33
	s_waitcnt vmcnt(2)
	v_mul_f32_e32 v56, v16, v39
	v_fma_f32 v25, v35, v8, -v25
	v_mul_f32_e32 v39, v45, v39
	v_mul_f32_e32 v8, v7, v37
	s_waitcnt lgkmcnt(0)
	v_fmac_f32_e32 v57, v52, v31
	v_fma_f32 v23, v52, v30, -v9
	v_mul_f32_e32 v52, v48, v37
	v_fmac_f32_e32 v49, v34, v33
	v_fma_f32 v24, v34, v32, -v24
	v_fmac_f32_e32 v39, v16, v38
	v_fma_f32 v16, v48, v36, -v8
	v_fmac_f32_e32 v52, v7, v36
	global_load_dwordx4 v[30:33], v11, s[12:13] offset:336
	global_load_dwordx4 v[34:37], v11, s[12:13] offset:320
	v_add_u32_e32 v8, 0x600, v44
	v_fma_f32 v45, v45, v38, -v56
	v_sub_f32_e32 v23, v14, v23
	v_sub_f32_e32 v24, v18, v24
	v_fma_f32 v14, v14, 2.0, -v23
	s_waitcnt vmcnt(1)
	v_mul_f32_e32 v7, v22, v33
	v_mul_f32_e32 v11, v22, v32
	v_fma_f32 v22, v51, v32, -v7
	ds_read2_b32 v[7:8], v8 offset0:96 offset1:144
	v_mul_f32_e32 v9, v21, v31
	v_fmac_f32_e32 v11, v51, v33
	s_waitcnt vmcnt(0)
	v_mul_f32_e32 v33, v13, v35
	s_waitcnt lgkmcnt(0)
	v_mul_f32_e32 v31, v8, v31
	v_fma_f32 v32, v8, v30, -v9
	v_fmac_f32_e32 v31, v21, v30
	v_mul_lo_u32 v21, s3, v4
	v_mul_lo_u32 v30, s2, v5
	v_mad_u64_u32 v[8:9], s[0:1], s2, v4, 0
	ds_read_b32 v0, v0
	ds_read2_b32 v[4:5], v15 offset0:128 offset1:176
	v_mul_f32_e32 v15, v20, v37
	v_add3_u32 v9, v9, v30, v21
	v_mul_f32_e32 v21, v12, v43
	v_fma_f32 v15, v7, v36, -v15
	v_mul_f32_e32 v7, v7, v37
	v_mul_f32_e32 v30, v10, v28
	v_fmac_f32_e32 v7, v20, v36
	s_waitcnt lgkmcnt(0)
	v_fma_f32 v21, v4, v42, -v21
	v_mul_f32_e32 v10, v10, v29
	v_mul_f32_e32 v4, v4, v43
	;; [unrolled: 1-line block ×5, first 2 shown]
	v_fmac_f32_e32 v30, v0, v29
	v_fma_f32 v5, v5, v34, -v33
	v_sub_f32_e32 v36, v39, v7
	v_mul_f32_e32 v7, v17, v27
	v_mul_f32_e32 v27, v46, v27
	v_fma_f32 v0, v0, v28, -v10
	v_fmac_f32_e32 v4, v12, v42
	v_fmac_f32_e32 v35, v13, v34
	v_fma_f32 v19, v50, v40, -v19
	v_fma_f32 v40, v46, v26, -v7
	v_sub_f32_e32 v5, v16, v5
	v_fmac_f32_e32 v27, v17, v26
	v_sub_f32_e32 v22, v0, v22
	v_sub_f32_e32 v4, v6, v4
	;; [unrolled: 1-line block ×6, first 2 shown]
	v_fmac_f32_e32 v20, v50, v41
	v_sub_f32_e32 v32, v40, v32
	v_sub_f32_e32 v49, v55, v57
	;; [unrolled: 1-line block ×5, first 2 shown]
	v_add_f32_e32 v42, v4, v22
	v_fma_f32 v51, v16, 2.0, -v5
	v_sub_f32_e32 v38, v21, v34
	v_add_f32_e32 v44, v36, v24
	v_sub_f32_e32 v7, v20, v53
	v_sub_f32_e32 v46, v5, v49
	v_add_f32_e32 v29, v28, v23
	v_mov_b32_e32 v43, v42
	v_sub_f32_e32 v53, v51, v14
	v_fma_f32 v23, v27, 2.0, -v25
	v_fma_f32 v27, v40, 2.0, -v32
	;; [unrolled: 1-line block ×3, first 2 shown]
	v_sub_f32_e32 v37, v33, v15
	v_mov_b32_e32 v48, v38
	v_sub_f32_e32 v41, v32, v7
	v_add_f32_e32 v31, v25, v17
	v_mov_b32_e32 v35, v29
	v_fmac_f32_e32 v43, 0x3f3504f3, v44
	v_sub_f32_e32 v40, v27, v14
	v_fma_f32 v52, v52, 2.0, -v28
	v_fma_f32 v14, v55, 2.0, -v49
	;; [unrolled: 1-line block ×3, first 2 shown]
	v_fmac_f32_e32 v48, 0x3f3504f3, v37
	v_mov_b32_e32 v26, v46
	v_fmac_f32_e32 v35, 0x3f3504f3, v31
	v_fmac_f32_e32 v43, 0x3f3504f3, v37
	v_fma_f32 v0, v0, 2.0, -v22
	v_fma_f32 v22, v39, 2.0, -v36
	v_sub_f32_e32 v49, v52, v14
	v_fma_f32 v45, v45, 2.0, -v33
	v_fma_f32 v14, v18, 2.0, -v24
	;; [unrolled: 1-line block ×6, first 2 shown]
	v_mov_b32_e32 v32, v5
	v_fma_f32 v36, v28, 2.0, -v29
	v_fmac_f32_e32 v48, 0xbf3504f3, v44
	v_fmac_f32_e32 v26, 0x3f3504f3, v41
	v_fmac_f32_e32 v35, 0x3f3504f3, v41
	v_mov_b32_e32 v10, v43
	v_fma_f32 v47, v47, 2.0, -v21
	v_sub_f32_e32 v24, v45, v14
	v_sub_f32_e32 v30, v56, v6
	v_fma_f32 v57, v21, 2.0, -v38
	v_fma_f32 v16, v33, 2.0, -v37
	v_fmac_f32_e32 v32, 0xbf3504f3, v19
	v_fma_f32 v21, v25, 2.0, -v31
	v_mov_b32_e32 v37, v36
	v_fmac_f32_e32 v26, 0xbf3504f3, v31
	v_mov_b32_e32 v11, v48
	v_fmac_f32_e32 v10, 0x3f6c835e, v35
	v_fma_f32 v7, v20, 2.0, -v7
	v_add_f32_e32 v34, v24, v30
	v_fmac_f32_e32 v32, 0xbf3504f3, v21
	v_fmac_f32_e32 v37, 0xbf3504f3, v21
	v_fma_f32 v21, v45, 2.0, -v24
	v_fma_f32 v24, v38, 2.0, -v48
	v_fmac_f32_e32 v11, 0x3f6c835e, v26
	v_fmac_f32_e32 v10, 0x3ec3ef15, v26
	v_sub_f32_e32 v0, v47, v0
	v_fma_f32 v15, v54, 2.0, -v15
	v_sub_f32_e32 v20, v23, v7
	v_fma_f32 v26, v46, 2.0, -v26
	v_mov_b32_e32 v25, v24
	v_sub_f32_e32 v39, v22, v15
	v_sub_f32_e32 v54, v53, v20
	v_fma_f32 v44, v47, 2.0, -v0
	v_fma_f32 v47, v52, 2.0, -v49
	;; [unrolled: 1-line block ×3, first 2 shown]
	v_fmac_f32_e32 v25, 0xbec3ef15, v26
	v_fma_f32 v28, v29, 2.0, -v35
	v_sub_f32_e32 v52, v47, v20
	v_fma_f32 v56, v56, 2.0, -v30
	v_fma_f32 v20, v22, 2.0, -v39
	v_fmac_f32_e32 v25, 0xbf6c835e, v28
	v_fma_f32 v29, v42, 2.0, -v43
	v_sub_f32_e32 v58, v56, v20
	v_fma_f32 v20, v27, 2.0, -v40
	v_fma_f32 v27, v24, 2.0, -v25
	v_mov_b32_e32 v24, v29
	v_sub_f32_e32 v50, v0, v39
	v_fmac_f32_e32 v24, 0xbec3ef15, v28
	v_fmac_f32_e32 v24, 0x3f6c835e, v26
	v_fma_f32 v0, v0, 2.0, -v50
	v_fmac_f32_e32 v11, 0xbec3ef15, v35
	v_add_f32_e32 v55, v40, v49
	v_fma_f32 v26, v29, 2.0, -v24
	v_fma_f32 v35, v53, 2.0, -v54
	v_mov_b32_e32 v29, v0
	v_fmac_f32_e32 v29, 0xbf3504f3, v35
	v_fma_f32 v38, v49, 2.0, -v55
	v_mov_b32_e32 v33, v57
	v_fmac_f32_e32 v29, 0xbf3504f3, v38
	v_fmac_f32_e32 v33, 0xbf3504f3, v16
	v_fma_f32 v31, v0, 2.0, -v29
	v_fma_f32 v0, v30, 2.0, -v34
	v_fmac_f32_e32 v33, 0xbf3504f3, v18
	v_mov_b32_e32 v28, v0
	v_mov_b32_e32 v17, v33
	v_fmac_f32_e32 v28, 0xbf3504f3, v38
	v_mov_b32_e32 v6, v34
	v_fmac_f32_e32 v17, 0x3ec3ef15, v32
	v_fmac_f32_e32 v37, 0x3f3504f3, v19
	v_fma_f32 v4, v4, 2.0, -v42
	v_fmac_f32_e32 v28, 0x3f3504f3, v35
	v_fmac_f32_e32 v6, 0x3f3504f3, v55
	;; [unrolled: 1-line block ×3, first 2 shown]
	v_mov_b32_e32 v41, v4
	v_fma_f32 v30, v0, 2.0, -v28
	v_fma_f32 v0, v57, 2.0, -v33
	v_fmac_f32_e32 v6, 0x3f3504f3, v54
	v_fma_f32 v19, v33, 2.0, -v17
	v_fmac_f32_e32 v41, 0xbf3504f3, v18
	v_fma_f32 v5, v5, 2.0, -v32
	v_mov_b32_e32 v33, v0
	v_fma_f32 v14, v34, 2.0, -v6
	v_fmac_f32_e32 v41, 0x3f3504f3, v16
	v_fmac_f32_e32 v33, 0xbf6c835e, v5
	v_fma_f32 v34, v36, 2.0, -v37
	v_mov_b32_e32 v16, v41
	v_fmac_f32_e32 v33, 0xbec3ef15, v34
	v_fmac_f32_e32 v16, 0x3ec3ef15, v37
	v_fma_f32 v35, v0, 2.0, -v33
	v_fma_f32 v0, v4, 2.0, -v41
	v_fmac_f32_e32 v16, 0x3f6c835e, v32
	v_mov_b32_e32 v32, v0
	v_fma_f32 v39, v51, 2.0, -v53
	v_fmac_f32_e32 v32, 0xbf6c835e, v34
	v_sub_f32_e32 v45, v44, v21
	v_sub_f32_e32 v40, v39, v20
	v_fmac_f32_e32 v32, 0x3ec3ef15, v5
	v_fma_f32 v34, v0, 2.0, -v32
	v_fma_f32 v0, v44, 2.0, -v45
	;; [unrolled: 1-line block ×3, first 2 shown]
	v_sub_f32_e32 v37, v0, v4
	v_fma_f32 v39, v0, 2.0, -v37
	v_fma_f32 v0, v56, 2.0, -v58
	;; [unrolled: 1-line block ×3, first 2 shown]
	v_lshlrev_b64 v[8:9], 3, v[8:9]
	v_sub_f32_e32 v36, v0, v4
	v_fma_f32 v38, v0, 2.0, -v36
	v_mov_b32_e32 v0, s11
	v_add_co_u32_e32 v5, vcc, s10, v8
	v_addc_co_u32_e32 v8, vcc, v0, v9, vcc
	v_lshlrev_b64 v[0:1], 3, v[1:2]
	v_mov_b32_e32 v4, 0
	v_add_co_u32_e32 v5, vcc, v5, v0
	v_addc_co_u32_e32 v8, vcc, v8, v1, vcc
	v_lshlrev_b64 v[0:1], 3, v[3:4]
	v_mov_b32_e32 v7, v50
	v_fmac_f32_e32 v7, 0x3f3504f3, v54
	v_add_co_u32_e32 v0, vcc, v5, v0
	v_fmac_f32_e32 v7, 0xbf3504f3, v55
	v_sub_f32_e32 v21, v45, v52
	v_add_f32_e32 v20, v58, v40
	v_addc_co_u32_e32 v1, vcc, v8, v1, vcc
	s_movk_i32 s0, 0x1000
	v_or_b32_e32 v3, 0x240, v3
	v_fma_f32 v13, v48, 2.0, -v11
	v_fma_f32 v12, v43, 2.0, -v10
	;; [unrolled: 1-line block ×6, first 2 shown]
	global_store_dwordx2 v[0:1], v[38:39], off
	global_store_dwordx2 v[0:1], v[34:35], off offset:384
	global_store_dwordx2 v[0:1], v[30:31], off offset:768
	;; [unrolled: 1-line block ×10, first 2 shown]
	v_add_co_u32_e32 v0, vcc, s0, v0
	v_lshlrev_b64 v[2:3], 3, v[3:4]
	v_addc_co_u32_e32 v1, vcc, 0, v1, vcc
	v_add_co_u32_e32 v2, vcc, v5, v2
	v_addc_co_u32_e32 v3, vcc, v8, v3, vcc
	global_store_dwordx2 v[0:1], v[24:25], off offset:128
	global_store_dwordx2 v[2:3], v[20:21], off
	global_store_dwordx2 v[0:1], v[16:17], off offset:896
	global_store_dwordx2 v[0:1], v[6:7], off offset:1280
	;; [unrolled: 1-line block ×3, first 2 shown]
.LBB0_23:
	s_endpgm
	.section	.rodata,"a",@progbits
	.p2align	6, 0x0
	.amdhsa_kernel fft_rtc_back_len768_factors_16_3_16_wgs_48_tpt_48_halfLds_sp_op_CI_CI_unitstride_sbrr_dirReg
		.amdhsa_group_segment_fixed_size 0
		.amdhsa_private_segment_fixed_size 0
		.amdhsa_kernarg_size 104
		.amdhsa_user_sgpr_count 6
		.amdhsa_user_sgpr_private_segment_buffer 1
		.amdhsa_user_sgpr_dispatch_ptr 0
		.amdhsa_user_sgpr_queue_ptr 0
		.amdhsa_user_sgpr_kernarg_segment_ptr 1
		.amdhsa_user_sgpr_dispatch_id 0
		.amdhsa_user_sgpr_flat_scratch_init 0
		.amdhsa_user_sgpr_private_segment_size 0
		.amdhsa_uses_dynamic_stack 0
		.amdhsa_system_sgpr_private_segment_wavefront_offset 0
		.amdhsa_system_sgpr_workgroup_id_x 1
		.amdhsa_system_sgpr_workgroup_id_y 0
		.amdhsa_system_sgpr_workgroup_id_z 0
		.amdhsa_system_sgpr_workgroup_info 0
		.amdhsa_system_vgpr_workitem_id 0
		.amdhsa_next_free_vgpr 62
		.amdhsa_next_free_sgpr 28
		.amdhsa_reserve_vcc 1
		.amdhsa_reserve_flat_scratch 0
		.amdhsa_float_round_mode_32 0
		.amdhsa_float_round_mode_16_64 0
		.amdhsa_float_denorm_mode_32 3
		.amdhsa_float_denorm_mode_16_64 3
		.amdhsa_dx10_clamp 1
		.amdhsa_ieee_mode 1
		.amdhsa_fp16_overflow 0
		.amdhsa_exception_fp_ieee_invalid_op 0
		.amdhsa_exception_fp_denorm_src 0
		.amdhsa_exception_fp_ieee_div_zero 0
		.amdhsa_exception_fp_ieee_overflow 0
		.amdhsa_exception_fp_ieee_underflow 0
		.amdhsa_exception_fp_ieee_inexact 0
		.amdhsa_exception_int_div_zero 0
	.end_amdhsa_kernel
	.text
.Lfunc_end0:
	.size	fft_rtc_back_len768_factors_16_3_16_wgs_48_tpt_48_halfLds_sp_op_CI_CI_unitstride_sbrr_dirReg, .Lfunc_end0-fft_rtc_back_len768_factors_16_3_16_wgs_48_tpt_48_halfLds_sp_op_CI_CI_unitstride_sbrr_dirReg
                                        ; -- End function
	.section	.AMDGPU.csdata,"",@progbits
; Kernel info:
; codeLenInByte = 6264
; NumSgprs: 32
; NumVgprs: 62
; ScratchSize: 0
; MemoryBound: 0
; FloatMode: 240
; IeeeMode: 1
; LDSByteSize: 0 bytes/workgroup (compile time only)
; SGPRBlocks: 3
; VGPRBlocks: 15
; NumSGPRsForWavesPerEU: 32
; NumVGPRsForWavesPerEU: 62
; Occupancy: 4
; WaveLimiterHint : 1
; COMPUTE_PGM_RSRC2:SCRATCH_EN: 0
; COMPUTE_PGM_RSRC2:USER_SGPR: 6
; COMPUTE_PGM_RSRC2:TRAP_HANDLER: 0
; COMPUTE_PGM_RSRC2:TGID_X_EN: 1
; COMPUTE_PGM_RSRC2:TGID_Y_EN: 0
; COMPUTE_PGM_RSRC2:TGID_Z_EN: 0
; COMPUTE_PGM_RSRC2:TIDIG_COMP_CNT: 0
	.type	__hip_cuid_9cbd02837af56197,@object ; @__hip_cuid_9cbd02837af56197
	.section	.bss,"aw",@nobits
	.globl	__hip_cuid_9cbd02837af56197
__hip_cuid_9cbd02837af56197:
	.byte	0                               ; 0x0
	.size	__hip_cuid_9cbd02837af56197, 1

	.ident	"AMD clang version 19.0.0git (https://github.com/RadeonOpenCompute/llvm-project roc-6.4.0 25133 c7fe45cf4b819c5991fe208aaa96edf142730f1d)"
	.section	".note.GNU-stack","",@progbits
	.addrsig
	.addrsig_sym __hip_cuid_9cbd02837af56197
	.amdgpu_metadata
---
amdhsa.kernels:
  - .args:
      - .actual_access:  read_only
        .address_space:  global
        .offset:         0
        .size:           8
        .value_kind:     global_buffer
      - .offset:         8
        .size:           8
        .value_kind:     by_value
      - .actual_access:  read_only
        .address_space:  global
        .offset:         16
        .size:           8
        .value_kind:     global_buffer
      - .actual_access:  read_only
        .address_space:  global
        .offset:         24
        .size:           8
        .value_kind:     global_buffer
      - .actual_access:  read_only
        .address_space:  global
        .offset:         32
        .size:           8
        .value_kind:     global_buffer
      - .offset:         40
        .size:           8
        .value_kind:     by_value
      - .actual_access:  read_only
        .address_space:  global
        .offset:         48
        .size:           8
        .value_kind:     global_buffer
      - .actual_access:  read_only
        .address_space:  global
        .offset:         56
        .size:           8
        .value_kind:     global_buffer
      - .offset:         64
        .size:           4
        .value_kind:     by_value
      - .actual_access:  read_only
        .address_space:  global
        .offset:         72
        .size:           8
        .value_kind:     global_buffer
      - .actual_access:  read_only
        .address_space:  global
        .offset:         80
        .size:           8
        .value_kind:     global_buffer
      - .actual_access:  read_only
        .address_space:  global
        .offset:         88
        .size:           8
        .value_kind:     global_buffer
      - .actual_access:  write_only
        .address_space:  global
        .offset:         96
        .size:           8
        .value_kind:     global_buffer
    .group_segment_fixed_size: 0
    .kernarg_segment_align: 8
    .kernarg_segment_size: 104
    .language:       OpenCL C
    .language_version:
      - 2
      - 0
    .max_flat_workgroup_size: 48
    .name:           fft_rtc_back_len768_factors_16_3_16_wgs_48_tpt_48_halfLds_sp_op_CI_CI_unitstride_sbrr_dirReg
    .private_segment_fixed_size: 0
    .sgpr_count:     32
    .sgpr_spill_count: 0
    .symbol:         fft_rtc_back_len768_factors_16_3_16_wgs_48_tpt_48_halfLds_sp_op_CI_CI_unitstride_sbrr_dirReg.kd
    .uniform_work_group_size: 1
    .uses_dynamic_stack: false
    .vgpr_count:     62
    .vgpr_spill_count: 0
    .wavefront_size: 64
amdhsa.target:   amdgcn-amd-amdhsa--gfx906
amdhsa.version:
  - 1
  - 2
...

	.end_amdgpu_metadata
